;; amdgpu-corpus repo=ROCm/rocFFT kind=compiled arch=gfx906 opt=O3
	.text
	.amdgcn_target "amdgcn-amd-amdhsa--gfx906"
	.amdhsa_code_object_version 6
	.protected	fft_rtc_back_len1296_factors_6_6_6_6_wgs_108_tpt_108_halfLds_half_op_CI_CI_unitstride_sbrr_R2C_dirReg ; -- Begin function fft_rtc_back_len1296_factors_6_6_6_6_wgs_108_tpt_108_halfLds_half_op_CI_CI_unitstride_sbrr_R2C_dirReg
	.globl	fft_rtc_back_len1296_factors_6_6_6_6_wgs_108_tpt_108_halfLds_half_op_CI_CI_unitstride_sbrr_R2C_dirReg
	.p2align	8
	.type	fft_rtc_back_len1296_factors_6_6_6_6_wgs_108_tpt_108_halfLds_half_op_CI_CI_unitstride_sbrr_R2C_dirReg,@function
fft_rtc_back_len1296_factors_6_6_6_6_wgs_108_tpt_108_halfLds_half_op_CI_CI_unitstride_sbrr_R2C_dirReg: ; @fft_rtc_back_len1296_factors_6_6_6_6_wgs_108_tpt_108_halfLds_half_op_CI_CI_unitstride_sbrr_R2C_dirReg
; %bb.0:
	s_load_dwordx4 s[8:11], s[4:5], 0x58
	s_load_dwordx4 s[12:15], s[4:5], 0x0
	;; [unrolled: 1-line block ×3, first 2 shown]
	v_mul_u32_u24_e32 v1, 0x25f, v0
	v_mov_b32_e32 v5, 0
	v_mov_b32_e32 v8, 0
	s_waitcnt lgkmcnt(0)
	v_cmp_lt_u64_e64 s[0:1], s[14:15], 2
	v_add_u32_sdwa v10, s6, v1 dst_sel:DWORD dst_unused:UNUSED_PAD src0_sel:DWORD src1_sel:WORD_1
	v_mov_b32_e32 v11, v5
	s_and_b64 vcc, exec, s[0:1]
	v_mov_b32_e32 v9, 0
	s_cbranch_vccnz .LBB0_8
; %bb.1:
	s_load_dwordx2 s[0:1], s[4:5], 0x10
	s_add_u32 s2, s18, 8
	s_addc_u32 s3, s19, 0
	s_add_u32 s6, s16, 8
	s_addc_u32 s7, s17, 0
	v_mov_b32_e32 v8, 0
	s_waitcnt lgkmcnt(0)
	s_add_u32 s20, s0, 8
	v_mov_b32_e32 v9, 0
	v_mov_b32_e32 v1, v8
	s_addc_u32 s21, s1, 0
	s_mov_b64 s[22:23], 1
	v_mov_b32_e32 v2, v9
.LBB0_2:                                ; =>This Inner Loop Header: Depth=1
	s_load_dwordx2 s[24:25], s[20:21], 0x0
                                        ; implicit-def: $vgpr3_vgpr4
	s_waitcnt lgkmcnt(0)
	v_or_b32_e32 v6, s25, v11
	v_cmp_ne_u64_e32 vcc, 0, v[5:6]
	s_and_saveexec_b64 s[0:1], vcc
	s_xor_b64 s[26:27], exec, s[0:1]
	s_cbranch_execz .LBB0_4
; %bb.3:                                ;   in Loop: Header=BB0_2 Depth=1
	v_cvt_f32_u32_e32 v3, s24
	v_cvt_f32_u32_e32 v4, s25
	s_sub_u32 s0, 0, s24
	s_subb_u32 s1, 0, s25
	v_mac_f32_e32 v3, 0x4f800000, v4
	v_rcp_f32_e32 v3, v3
	v_mul_f32_e32 v3, 0x5f7ffffc, v3
	v_mul_f32_e32 v4, 0x2f800000, v3
	v_trunc_f32_e32 v4, v4
	v_mac_f32_e32 v3, 0xcf800000, v4
	v_cvt_u32_f32_e32 v4, v4
	v_cvt_u32_f32_e32 v3, v3
	v_mul_lo_u32 v6, s0, v4
	v_mul_hi_u32 v7, s0, v3
	v_mul_lo_u32 v13, s1, v3
	v_mul_lo_u32 v12, s0, v3
	v_add_u32_e32 v6, v7, v6
	v_add_u32_e32 v6, v6, v13
	v_mul_hi_u32 v7, v3, v12
	v_mul_lo_u32 v13, v3, v6
	v_mul_hi_u32 v15, v3, v6
	v_mul_hi_u32 v14, v4, v12
	v_mul_lo_u32 v12, v4, v12
	v_mul_hi_u32 v16, v4, v6
	v_add_co_u32_e32 v7, vcc, v7, v13
	v_addc_co_u32_e32 v13, vcc, 0, v15, vcc
	v_mul_lo_u32 v6, v4, v6
	v_add_co_u32_e32 v7, vcc, v7, v12
	v_addc_co_u32_e32 v7, vcc, v13, v14, vcc
	v_addc_co_u32_e32 v12, vcc, 0, v16, vcc
	v_add_co_u32_e32 v6, vcc, v7, v6
	v_addc_co_u32_e32 v7, vcc, 0, v12, vcc
	v_add_co_u32_e32 v3, vcc, v3, v6
	v_addc_co_u32_e32 v4, vcc, v4, v7, vcc
	v_mul_lo_u32 v6, s0, v4
	v_mul_hi_u32 v7, s0, v3
	v_mul_lo_u32 v12, s1, v3
	v_mul_lo_u32 v13, s0, v3
	v_add_u32_e32 v6, v7, v6
	v_add_u32_e32 v6, v6, v12
	v_mul_lo_u32 v14, v3, v6
	v_mul_hi_u32 v15, v3, v13
	v_mul_hi_u32 v16, v3, v6
	v_mul_hi_u32 v12, v4, v13
	v_mul_lo_u32 v13, v4, v13
	v_mul_hi_u32 v7, v4, v6
	v_add_co_u32_e32 v14, vcc, v15, v14
	v_addc_co_u32_e32 v15, vcc, 0, v16, vcc
	v_mul_lo_u32 v6, v4, v6
	v_add_co_u32_e32 v13, vcc, v14, v13
	v_addc_co_u32_e32 v12, vcc, v15, v12, vcc
	v_addc_co_u32_e32 v7, vcc, 0, v7, vcc
	v_add_co_u32_e32 v6, vcc, v12, v6
	v_addc_co_u32_e32 v7, vcc, 0, v7, vcc
	v_add_co_u32_e32 v6, vcc, v3, v6
	v_addc_co_u32_e32 v7, vcc, v4, v7, vcc
	v_mad_u64_u32 v[3:4], s[0:1], v10, v7, 0
	v_mul_hi_u32 v12, v10, v6
	v_add_co_u32_e32 v12, vcc, v12, v3
	v_addc_co_u32_e32 v13, vcc, 0, v4, vcc
	v_mad_u64_u32 v[3:4], s[0:1], v11, v6, 0
	v_mad_u64_u32 v[6:7], s[0:1], v11, v7, 0
	v_add_co_u32_e32 v3, vcc, v12, v3
	v_addc_co_u32_e32 v3, vcc, v13, v4, vcc
	v_addc_co_u32_e32 v4, vcc, 0, v7, vcc
	v_add_co_u32_e32 v6, vcc, v3, v6
	v_addc_co_u32_e32 v7, vcc, 0, v4, vcc
	v_mul_lo_u32 v12, s25, v6
	v_mul_lo_u32 v13, s24, v7
	v_mad_u64_u32 v[3:4], s[0:1], s24, v6, 0
	v_add3_u32 v4, v4, v13, v12
	v_sub_u32_e32 v12, v11, v4
	v_mov_b32_e32 v13, s25
	v_sub_co_u32_e32 v3, vcc, v10, v3
	v_subb_co_u32_e64 v12, s[0:1], v12, v13, vcc
	v_subrev_co_u32_e64 v13, s[0:1], s24, v3
	v_subbrev_co_u32_e64 v12, s[0:1], 0, v12, s[0:1]
	v_cmp_le_u32_e64 s[0:1], s25, v12
	v_cndmask_b32_e64 v14, 0, -1, s[0:1]
	v_cmp_le_u32_e64 s[0:1], s24, v13
	v_cndmask_b32_e64 v13, 0, -1, s[0:1]
	v_cmp_eq_u32_e64 s[0:1], s25, v12
	v_cndmask_b32_e64 v12, v14, v13, s[0:1]
	v_add_co_u32_e64 v13, s[0:1], 2, v6
	v_addc_co_u32_e64 v14, s[0:1], 0, v7, s[0:1]
	v_add_co_u32_e64 v15, s[0:1], 1, v6
	v_addc_co_u32_e64 v16, s[0:1], 0, v7, s[0:1]
	v_subb_co_u32_e32 v4, vcc, v11, v4, vcc
	v_cmp_ne_u32_e64 s[0:1], 0, v12
	v_cmp_le_u32_e32 vcc, s25, v4
	v_cndmask_b32_e64 v12, v16, v14, s[0:1]
	v_cndmask_b32_e64 v14, 0, -1, vcc
	v_cmp_le_u32_e32 vcc, s24, v3
	v_cndmask_b32_e64 v3, 0, -1, vcc
	v_cmp_eq_u32_e32 vcc, s25, v4
	v_cndmask_b32_e32 v3, v14, v3, vcc
	v_cmp_ne_u32_e32 vcc, 0, v3
	v_cndmask_b32_e64 v3, v15, v13, s[0:1]
	v_cndmask_b32_e32 v4, v7, v12, vcc
	v_cndmask_b32_e32 v3, v6, v3, vcc
.LBB0_4:                                ;   in Loop: Header=BB0_2 Depth=1
	s_andn2_saveexec_b64 s[0:1], s[26:27]
	s_cbranch_execz .LBB0_6
; %bb.5:                                ;   in Loop: Header=BB0_2 Depth=1
	v_cvt_f32_u32_e32 v3, s24
	s_sub_i32 s26, 0, s24
	v_rcp_iflag_f32_e32 v3, v3
	v_mul_f32_e32 v3, 0x4f7ffffe, v3
	v_cvt_u32_f32_e32 v3, v3
	v_mul_lo_u32 v4, s26, v3
	v_mul_hi_u32 v4, v3, v4
	v_add_u32_e32 v3, v3, v4
	v_mul_hi_u32 v3, v10, v3
	v_mul_lo_u32 v4, v3, s24
	v_add_u32_e32 v6, 1, v3
	v_sub_u32_e32 v4, v10, v4
	v_subrev_u32_e32 v7, s24, v4
	v_cmp_le_u32_e32 vcc, s24, v4
	v_cndmask_b32_e32 v4, v4, v7, vcc
	v_cndmask_b32_e32 v3, v3, v6, vcc
	v_add_u32_e32 v6, 1, v3
	v_cmp_le_u32_e32 vcc, s24, v4
	v_cndmask_b32_e32 v3, v3, v6, vcc
	v_mov_b32_e32 v4, v5
.LBB0_6:                                ;   in Loop: Header=BB0_2 Depth=1
	s_or_b64 exec, exec, s[0:1]
	v_mul_lo_u32 v12, v4, s24
	v_mul_lo_u32 v13, v3, s25
	v_mad_u64_u32 v[6:7], s[0:1], v3, s24, 0
	s_load_dwordx2 s[0:1], s[6:7], 0x0
	s_load_dwordx2 s[24:25], s[2:3], 0x0
	v_add3_u32 v7, v7, v13, v12
	v_sub_co_u32_e32 v6, vcc, v10, v6
	v_subb_co_u32_e32 v7, vcc, v11, v7, vcc
	s_waitcnt lgkmcnt(0)
	v_mul_lo_u32 v10, s0, v7
	v_mul_lo_u32 v11, s1, v6
	v_mad_u64_u32 v[8:9], s[0:1], s0, v6, v[8:9]
	v_mul_lo_u32 v7, s24, v7
	v_mul_lo_u32 v12, s25, v6
	v_mad_u64_u32 v[1:2], s[0:1], s24, v6, v[1:2]
	s_add_u32 s22, s22, 1
	s_addc_u32 s23, s23, 0
	s_add_u32 s2, s2, 8
	v_add3_u32 v2, v12, v2, v7
	s_addc_u32 s3, s3, 0
	v_mov_b32_e32 v6, s14
	s_add_u32 s6, s6, 8
	v_mov_b32_e32 v7, s15
	s_addc_u32 s7, s7, 0
	v_cmp_ge_u64_e32 vcc, s[22:23], v[6:7]
	s_add_u32 s20, s20, 8
	v_add3_u32 v9, v11, v9, v10
	s_addc_u32 s21, s21, 0
	s_cbranch_vccnz .LBB0_9
; %bb.7:                                ;   in Loop: Header=BB0_2 Depth=1
	v_mov_b32_e32 v11, v4
	v_mov_b32_e32 v10, v3
	s_branch .LBB0_2
.LBB0_8:
	v_mov_b32_e32 v1, v8
	v_mov_b32_e32 v3, v10
	;; [unrolled: 1-line block ×4, first 2 shown]
.LBB0_9:
	s_load_dwordx2 s[4:5], s[4:5], 0x28
	s_lshl_b64 s[6:7], s[14:15], 3
	s_add_u32 s2, s18, s6
	s_addc_u32 s3, s19, s7
                                        ; implicit-def: $vgpr5
                                        ; implicit-def: $vgpr7
	s_waitcnt lgkmcnt(0)
	v_cmp_gt_u64_e64 s[0:1], s[4:5], v[3:4]
	v_cmp_le_u64_e32 vcc, s[4:5], v[3:4]
	s_and_saveexec_b64 s[4:5], vcc
	s_xor_b64 s[4:5], exec, s[4:5]
; %bb.10:
	s_mov_b32 s14, 0x25ed098
	v_mul_hi_u32 v5, v0, s14
                                        ; implicit-def: $vgpr8_vgpr9
	v_mul_u32_u24_e32 v5, 0x6c, v5
	v_sub_u32_e32 v5, v0, v5
	v_add_u32_e32 v7, 0x6c, v5
                                        ; implicit-def: $vgpr0
; %bb.11:
	s_andn2_saveexec_b64 s[4:5], s[4:5]
	s_cbranch_execz .LBB0_13
; %bb.12:
	s_add_u32 s6, s16, s6
	s_addc_u32 s7, s17, s7
	s_load_dwordx2 s[6:7], s[6:7], 0x0
	s_mov_b32 s14, 0x25ed098
	v_mul_hi_u32 v5, v0, s14
	s_waitcnt lgkmcnt(0)
	v_mul_lo_u32 v10, s7, v3
	v_mul_lo_u32 v11, s6, v4
	v_mad_u64_u32 v[6:7], s[6:7], s6, v3, 0
	v_mul_u32_u24_e32 v5, 0x6c, v5
	v_sub_u32_e32 v5, v0, v5
	v_add3_u32 v7, v7, v11, v10
	v_lshlrev_b64 v[6:7], 2, v[6:7]
	v_mov_b32_e32 v0, s9
	v_add_co_u32_e32 v10, vcc, s8, v6
	v_addc_co_u32_e32 v0, vcc, v0, v7, vcc
	v_lshlrev_b64 v[6:7], 2, v[8:9]
	v_add_co_u32_e32 v6, vcc, v10, v6
	v_addc_co_u32_e32 v0, vcc, v0, v7, vcc
	v_lshlrev_b32_e32 v10, 2, v5
	v_add_co_u32_e32 v6, vcc, v6, v10
	v_addc_co_u32_e32 v7, vcc, 0, v0, vcc
	global_load_dword v0, v[6:7], off
	global_load_dword v11, v[6:7], off offset:432
	global_load_dword v12, v[6:7], off offset:864
	;; [unrolled: 1-line block ×7, first 2 shown]
	v_add_co_u32_e32 v8, vcc, 0x1000, v6
	v_addc_co_u32_e32 v9, vcc, 0, v7, vcc
	global_load_dword v18, v[6:7], off offset:3456
	global_load_dword v19, v[6:7], off offset:3888
	;; [unrolled: 1-line block ×4, first 2 shown]
	v_add_u32_e32 v6, 0, v10
	v_add_u32_e32 v7, 0x6c, v5
	;; [unrolled: 1-line block ×6, first 2 shown]
	s_waitcnt vmcnt(10)
	ds_write2_b32 v6, v0, v11 offset1:108
	s_waitcnt vmcnt(8)
	ds_write2_b32 v8, v12, v13 offset0:88 offset1:196
	s_waitcnt vmcnt(6)
	ds_write2_b32 v9, v14, v15 offset0:48 offset1:156
	;; [unrolled: 2-line block ×4, first 2 shown]
	v_add_u32_e32 v0, 0x1000, v6
	s_waitcnt vmcnt(0)
	ds_write2_b32 v0, v20, v21 offset0:56 offset1:164
.LBB0_13:
	s_or_b64 exec, exec, s[4:5]
	v_lshlrev_b32_e32 v6, 2, v5
	v_add_u32_e32 v0, 0, v6
	v_add_u32_e32 v10, 0x200, v0
	s_load_dwordx2 s[2:3], s[2:3], 0x0
	s_waitcnt lgkmcnt(0)
	s_barrier
	ds_read2_b32 v[12:13], v10 offset0:88 offset1:196
	v_add_u32_e32 v10, 0x600, v0
	ds_read2_b32 v[14:15], v10 offset0:48 offset1:156
	v_add_u32_e32 v10, 0xc00, v0
	ds_read2_b32 v[16:17], v10 offset0:96 offset1:204
	ds_read2_b32 v[8:9], v0 offset1:108
	v_add_u32_e32 v10, 0x800, v0
	v_add_u32_e32 v11, 0x1000, v0
	ds_read2_b32 v[18:19], v10 offset0:136 offset1:244
	ds_read2_b32 v[20:21], v11 offset0:56 offset1:164
	s_waitcnt lgkmcnt(3)
	v_pk_add_f16 v11, v14, v16
	s_waitcnt lgkmcnt(2)
	v_pk_fma_f16 v11, v11, 0.5, v8 op_sel_hi:[1,0,1] neg_lo:[1,0,0] neg_hi:[1,0,0]
	v_pk_add_f16 v22, v14, v16 neg_lo:[0,1] neg_hi:[0,1]
	s_movk_i32 s4, 0x3aee
	v_pk_fma_f16 v23, v22, s4, v11 op_sel:[0,0,1] op_sel_hi:[1,0,0] neg_lo:[1,0,0] neg_hi:[1,0,0]
	v_pk_fma_f16 v11, v22, s4, v11 op_sel:[0,0,1] op_sel_hi:[1,0,0]
	s_waitcnt lgkmcnt(0)
	v_pk_add_f16 v22, v18, v20
	v_pk_fma_f16 v22, v22, 0.5, v12 op_sel_hi:[1,0,1] neg_lo:[1,0,0] neg_hi:[1,0,0]
	v_pk_add_f16 v24, v18, v20 neg_lo:[0,1] neg_hi:[0,1]
	v_pk_fma_f16 v25, v24, s4, v22 op_sel:[0,0,1] op_sel_hi:[1,0,0]
	v_pk_fma_f16 v22, v24, s4, v22 op_sel:[0,0,1] op_sel_hi:[1,0,0] neg_lo:[1,0,0] neg_hi:[1,0,0]
	v_pk_mul_f16 v27, v22, s4 op_sel_hi:[1,0]
	s_mov_b32 s5, 0xb8003800
	v_lshrrev_b32_e32 v24, 16, v22
	v_mul_f16_e32 v26, 0xbaee, v25
	v_pk_fma_f16 v28, v25, s5, v27 op_sel:[0,0,1] op_sel_hi:[1,1,0]
	v_pk_fma_f16 v27, v25, s5, v27 op_sel:[0,0,1] op_sel_hi:[1,1,0] neg_lo:[0,0,1] neg_hi:[0,0,1]
	s_mov_b32 s6, 0xffff
	v_lshrrev_b32_e32 v25, 16, v25
	v_mul_f16_e32 v22, -0.5, v22
	v_fma_f16 v24, v24, 0.5, v26
	v_bfi_b32 v29, s6, v28, v27
	v_fma_f16 v22, v25, s4, v22
	v_pk_add_f16 v8, v8, v14
	v_pk_add_f16 v12, v12, v18
	v_add_f16_sdwa v26, v23, v24 dst_sel:DWORD dst_unused:UNUSED_PAD src0_sel:WORD_1 src1_sel:DWORD
	v_pk_add_f16 v29, v11, v29
	v_add_f16_e32 v25, v23, v22
	v_pk_add_f16 v8, v8, v16
	v_pk_add_f16 v14, v12, v20
	v_pack_b32_f16 v12, v24, v28
	v_alignbit_b32 v16, v11, v23, 16
	v_alignbit_b32 v11, v23, v11, 16
	;; [unrolled: 1-line block ×4, first 2 shown]
	v_pack_b32_f16 v26, v26, v29
	v_mad_u32_u24 v29, v5, 20, v0
	v_pk_add_f16 v12, v16, v12 neg_lo:[0,1] neg_hi:[0,1]
	v_pk_add_f16 v16, v8, v14 neg_lo:[0,1] neg_hi:[0,1]
	v_pk_add_f16 v8, v8, v14
	v_pk_add_f16 v11, v11, v20 neg_lo:[0,1] neg_hi:[0,1]
	s_barrier
	ds_write2_b32 v29, v8, v11 offset1:5
	v_pk_add_f16 v8, v15, v17
	ds_write2_b32 v29, v16, v12 offset0:3 offset1:4
	v_pk_add_f16 v16, v9, v15
	v_pk_fma_f16 v8, v8, 0.5, v9 op_sel_hi:[1,0,1] neg_lo:[1,0,0] neg_hi:[1,0,0]
	v_pk_add_f16 v9, v15, v17 neg_lo:[0,1] neg_hi:[0,1]
	v_pk_fma_f16 v11, v9, s4, v8 op_sel:[0,0,1] op_sel_hi:[1,0,0] neg_lo:[1,0,0] neg_hi:[1,0,0]
	v_pk_fma_f16 v8, v9, s4, v8 op_sel:[0,0,1] op_sel_hi:[1,0,0]
	v_pk_add_f16 v9, v19, v21
	v_pk_add_f16 v14, v13, v19
	v_pk_fma_f16 v9, v9, 0.5, v13 op_sel_hi:[1,0,1] neg_lo:[1,0,0] neg_hi:[1,0,0]
	v_pk_add_f16 v13, v19, v21 neg_lo:[0,1] neg_hi:[0,1]
	v_pk_fma_f16 v15, v13, s4, v9 op_sel:[0,0,1] op_sel_hi:[1,0,0]
	v_pk_fma_f16 v9, v13, s4, v9 op_sel:[0,0,1] op_sel_hi:[1,0,0] neg_lo:[1,0,0] neg_hi:[1,0,0]
	v_pk_mul_f16 v19, v9, s4 op_sel_hi:[1,0]
	v_pk_add_f16 v16, v16, v17
	v_lshrrev_b32_e32 v13, 16, v9
	v_mul_f16_e32 v17, 0xbaee, v15
	v_pk_fma_f16 v20, v15, s5, v19 op_sel:[0,0,1] op_sel_hi:[1,1,0]
	v_pk_fma_f16 v19, v15, s5, v19 op_sel:[0,0,1] op_sel_hi:[1,1,0] neg_lo:[0,0,1] neg_hi:[0,0,1]
	v_lshrrev_b32_e32 v15, 16, v15
	v_mul_f16_e32 v9, -0.5, v9
	v_pk_add_f16 v14, v14, v21
	v_fma_f16 v13, v13, 0.5, v17
	v_bfi_b32 v21, s6, v20, v19
	v_fma_f16 v9, v15, s4, v9
	v_mul_i32_i24_e32 v12, 6, v7
	v_add_f16_sdwa v17, v11, v13 dst_sel:DWORD dst_unused:UNUSED_PAD src0_sel:WORD_1 src1_sel:DWORD
	v_pk_add_f16 v21, v8, v21
	v_add_f16_e32 v15, v11, v9
	v_lshl_add_u32 v12, v12, 2, 0
	v_alignbit_b32 v15, v15, v21, 16
	v_pack_b32_f16 v17, v17, v21
	ds_write2_b32 v29, v26, v25 offset0:1 offset1:2
	ds_write2_b32 v12, v17, v15 offset0:1 offset1:2
	v_alignbit_b32 v15, v8, v11, 16
	v_alignbit_b32 v8, v11, v8, 16
	;; [unrolled: 1-line block ×3, first 2 shown]
	v_pk_add_f16 v18, v16, v14
	v_pk_add_f16 v8, v8, v9 neg_lo:[0,1] neg_hi:[0,1]
	s_movk_i32 s5, 0xab
	ds_write2_b32 v12, v18, v8 offset1:5
	v_mul_lo_u16_sdwa v8, v5, s5 dst_sel:DWORD dst_unused:UNUSED_PAD src0_sel:BYTE_0 src1_sel:DWORD
	v_lshrrev_b16_e32 v11, 10, v8
	v_mul_lo_u16_e32 v8, 6, v11
	v_sub_u16_e32 v28, v5, v8
	v_mov_b32_e32 v29, 5
	v_pack_b32_f16 v13, v13, v20
	v_mul_u32_u24_sdwa v8, v28, v29 dst_sel:DWORD dst_unused:UNUSED_PAD src0_sel:BYTE_0 src1_sel:DWORD
	v_pk_add_f16 v14, v16, v14 neg_lo:[0,1] neg_hi:[0,1]
	v_pk_add_f16 v13, v15, v13 neg_lo:[0,1] neg_hi:[0,1]
	v_lshlrev_b32_e32 v8, 2, v8
	ds_write2_b32 v12, v14, v13 offset0:3 offset1:4
	s_waitcnt lgkmcnt(0)
	s_barrier
	global_load_dwordx4 v[14:17], v8, s[12:13]
	v_mul_lo_u16_sdwa v9, v7, s5 dst_sel:DWORD dst_unused:UNUSED_PAD src0_sel:BYTE_0 src1_sel:DWORD
	v_lshrrev_b16_e32 v30, 10, v9
	v_mul_lo_u16_e32 v9, 6, v30
	v_sub_u16_e32 v31, v7, v9
	v_mul_u32_u24_sdwa v9, v31, v29 dst_sel:DWORD dst_unused:UNUSED_PAD src0_sel:BYTE_0 src1_sel:DWORD
	v_lshlrev_b32_e32 v13, 2, v9
	global_load_dwordx4 v[18:21], v13, s[12:13]
	global_load_dword v32, v8, s[12:13] offset:16
	global_load_dword v33, v13, s[12:13] offset:16
	ds_read2_b32 v[8:9], v0 offset1:216
	v_add_u32_e32 v13, 0x400, v0
	ds_read2_b32 v[22:23], v13 offset0:68 offset1:176
	ds_read2_b32 v[24:25], v10 offset0:28 offset1:136
	s_mov_b32 s5, 0xbaee
	v_mul_u32_u24_e32 v11, 0x90, v11
	s_waitcnt lgkmcnt(2)
	v_lshrrev_b32_e32 v26, 16, v9
	s_movk_i32 s7, 0xffec
	s_waitcnt vmcnt(3)
	v_mul_f16_sdwa v27, v14, v26 dst_sel:DWORD dst_unused:UNUSED_PAD src0_sel:WORD_1 src1_sel:DWORD
	v_fma_f16 v34, v14, v9, v27
	v_mul_f16_sdwa v9, v14, v9 dst_sel:DWORD dst_unused:UNUSED_PAD src0_sel:WORD_1 src1_sel:DWORD
	v_fma_f16 v9, v14, v26, -v9
	s_waitcnt lgkmcnt(1)
	v_lshrrev_b32_e32 v14, 16, v23
	v_mul_f16_sdwa v26, v15, v14 dst_sel:DWORD dst_unused:UNUSED_PAD src0_sel:WORD_1 src1_sel:DWORD
	v_fma_f16 v35, v15, v23, v26
	v_mul_f16_sdwa v23, v15, v23 dst_sel:DWORD dst_unused:UNUSED_PAD src0_sel:WORD_1 src1_sel:DWORD
	v_fma_f16 v23, v15, v14, -v23
	v_add_u32_e32 v15, 0xa00, v0
	ds_read2_b32 v[26:27], v15 offset0:116 offset1:224
	s_waitcnt lgkmcnt(1)
	v_lshrrev_b32_e32 v14, 16, v25
	v_mul_f16_sdwa v36, v16, v25 dst_sel:DWORD dst_unused:UNUSED_PAD src0_sel:WORD_1 src1_sel:DWORD
	v_fma_f16 v36, v16, v14, -v36
	v_mul_f16_sdwa v14, v16, v14 dst_sel:DWORD dst_unused:UNUSED_PAD src0_sel:WORD_1 src1_sel:DWORD
	v_fma_f16 v25, v16, v25, v14
	s_waitcnt lgkmcnt(0)
	v_lshrrev_b32_e32 v14, 16, v27
	v_mul_f16_sdwa v16, v17, v27 dst_sel:DWORD dst_unused:UNUSED_PAD src0_sel:WORD_1 src1_sel:DWORD
	v_fma_f16 v37, v17, v14, -v16
	v_mul_f16_sdwa v14, v17, v14 dst_sel:DWORD dst_unused:UNUSED_PAD src0_sel:WORD_1 src1_sel:DWORD
	v_fma_f16 v27, v17, v27, v14
	v_lshrrev_b32_e32 v14, 16, v22
	s_waitcnt vmcnt(2)
	v_mul_f16_sdwa v16, v14, v18 dst_sel:DWORD dst_unused:UNUSED_PAD src0_sel:DWORD src1_sel:WORD_1
	v_fma_f16 v38, v22, v18, v16
	v_mul_f16_sdwa v16, v22, v18 dst_sel:DWORD dst_unused:UNUSED_PAD src0_sel:DWORD src1_sel:WORD_1
	v_fma_f16 v18, v14, v18, -v16
	v_lshrrev_b32_e32 v14, 16, v24
	v_mul_f16_sdwa v16, v14, v19 dst_sel:DWORD dst_unused:UNUSED_PAD src0_sel:DWORD src1_sel:WORD_1
	v_fma_f16 v22, v24, v19, v16
	v_mul_f16_sdwa v16, v24, v19 dst_sel:DWORD dst_unused:UNUSED_PAD src0_sel:DWORD src1_sel:WORD_1
	v_fma_f16 v19, v14, v19, -v16
	v_add_u32_e32 v14, 0xe00, v0
	ds_read2_b32 v[16:17], v14 offset0:76 offset1:184
	v_lshrrev_b32_e32 v24, 16, v26
	v_mul_f16_sdwa v39, v24, v20 dst_sel:DWORD dst_unused:UNUSED_PAD src0_sel:DWORD src1_sel:WORD_1
	v_fma_f16 v39, v26, v20, v39
	v_mul_f16_sdwa v26, v26, v20 dst_sel:DWORD dst_unused:UNUSED_PAD src0_sel:DWORD src1_sel:WORD_1
	v_fma_f16 v20, v24, v20, -v26
	s_waitcnt lgkmcnt(0)
	v_lshrrev_b32_e32 v24, 16, v16
	v_mul_f16_sdwa v26, v16, v21 dst_sel:DWORD dst_unused:UNUSED_PAD src0_sel:DWORD src1_sel:WORD_1
	v_fma_f16 v26, v24, v21, -v26
	v_mul_f16_sdwa v24, v24, v21 dst_sel:DWORD dst_unused:UNUSED_PAD src0_sel:DWORD src1_sel:WORD_1
	v_fma_f16 v16, v16, v21, v24
	v_lshrrev_b32_e32 v21, 16, v17
	s_waitcnt vmcnt(1)
	v_mul_f16_sdwa v24, v32, v21 dst_sel:DWORD dst_unused:UNUSED_PAD src0_sel:WORD_1 src1_sel:DWORD
	v_fma_f16 v24, v32, v17, v24
	v_mul_f16_sdwa v17, v32, v17 dst_sel:DWORD dst_unused:UNUSED_PAD src0_sel:WORD_1 src1_sel:DWORD
	v_fma_f16 v17, v32, v21, -v17
	v_lshrrev_b32_e32 v32, 16, v8
	v_add_f16_e32 v21, v35, v27
	v_add_f16_e32 v40, v32, v23
	v_sub_f16_e32 v41, v23, v37
	v_add_f16_e32 v23, v23, v37
	v_fma_f16 v21, v21, -0.5, v8
	v_add_f16_e32 v8, v8, v35
	v_fma_f16 v23, v23, -0.5, v32
	v_add_f16_e32 v32, v9, v36
	v_add_f16_e32 v8, v8, v27
	v_sub_f16_e32 v27, v35, v27
	v_add_f16_e32 v32, v32, v17
	v_sub_f16_e32 v35, v36, v17
	v_add_f16_e32 v17, v36, v17
	v_fma_f16 v9, v17, -0.5, v9
	v_add_f16_e32 v17, v25, v24
	v_fma_f16 v17, v17, -0.5, v34
	v_add_f16_e32 v34, v34, v25
	v_add_f16_e32 v34, v34, v24
	v_sub_f16_e32 v24, v25, v24
	v_fma_f16 v36, v24, s4, v9
	v_add_f16_e32 v40, v40, v37
	v_fma_f16 v25, v35, s5, v17
	v_mul_f16_e32 v37, 0xbaee, v36
	v_mul_f16_e32 v36, 0.5, v36
	v_fma_f16 v37, v25, 0.5, v37
	v_fma_f16 v25, v25, s4, v36
	v_mov_b32_e32 v36, 2
	v_lshlrev_b32_sdwa v28, v36, v28 dst_sel:DWORD dst_unused:UNUSED_PAD src0_sel:DWORD src1_sel:BYTE_0
	v_add3_u32 v28, 0, v11, v28
	v_add_f16_e32 v11, v8, v34
	v_add_f16_e32 v42, v40, v32
	v_fma_f16 v43, v41, s5, v21
	v_fma_f16 v44, v27, s4, v23
	v_pack_b32_f16 v42, v11, v42
	v_add_f16_e32 v11, v43, v37
	v_add_f16_e32 v45, v44, v25
	v_fma_f16 v9, v24, s5, v9
	v_pack_b32_f16 v45, v11, v45
	v_mad_i32_i24 v11, v7, s7, v12
	v_fma_f16 v17, v35, s4, v17
	v_mul_f16_e32 v24, 0xbaee, v9
	v_mul_f16_e32 v9, -0.5, v9
	ds_read_b32 v46, v11
	ds_read_b32 v47, v0 offset:4752
	v_fma_f16 v21, v41, s4, v21
	v_fma_f16 v23, v27, s5, v23
	v_fma_f16 v24, v17, -0.5, v24
	v_fma_f16 v9, v17, s4, v9
	v_sub_f16_e32 v8, v8, v34
	v_sub_f16_e32 v17, v40, v32
	v_add_f16_e32 v27, v21, v24
	v_add_f16_e32 v32, v23, v9
	v_pack_b32_f16 v27, v27, v32
	v_pack_b32_f16 v8, v8, v17
	s_waitcnt vmcnt(0) lgkmcnt(0)
	s_barrier
	ds_write2_b32 v28, v27, v8 offset0:12 offset1:18
	v_sub_f16_e32 v8, v43, v37
	v_sub_f16_e32 v17, v21, v24
	;; [unrolled: 1-line block ×4, first 2 shown]
	v_pack_b32_f16 v8, v8, v21
	v_pack_b32_f16 v9, v17, v9
	ds_write2_b32 v28, v8, v9 offset0:24 offset1:30
	v_lshrrev_b32_e32 v8, 16, v47
	v_mul_f16_sdwa v17, v47, v33 dst_sel:DWORD dst_unused:UNUSED_PAD src0_sel:DWORD src1_sel:WORD_1
	v_mul_f16_sdwa v9, v8, v33 dst_sel:DWORD dst_unused:UNUSED_PAD src0_sel:DWORD src1_sel:WORD_1
	v_fma_f16 v8, v8, v33, -v17
	v_add_f16_e32 v17, v22, v16
	v_fma_f16 v17, v17, -0.5, v46
	v_sub_f16_e32 v21, v19, v26
	v_fma_f16 v23, v21, s5, v17
	v_fma_f16 v17, v21, s4, v17
	v_lshrrev_b32_e32 v21, 16, v46
	v_add_f16_e32 v24, v21, v19
	v_add_f16_e32 v19, v19, v26
	v_fma_f16 v19, v19, -0.5, v21
	v_add_f16_e32 v21, v46, v22
	v_fma_f16 v9, v47, v33, v9
	v_add_f16_e32 v21, v21, v16
	v_sub_f16_e32 v16, v22, v16
	v_fma_f16 v22, v16, s4, v19
	v_fma_f16 v16, v16, s5, v19
	v_add_f16_e32 v19, v39, v9
	v_fma_f16 v19, v19, -0.5, v38
	v_sub_f16_e32 v25, v20, v8
	v_add_f16_e32 v24, v24, v26
	v_fma_f16 v26, v25, s5, v19
	v_fma_f16 v19, v25, s4, v19
	v_add_f16_e32 v25, v18, v20
	v_add_f16_e32 v25, v25, v8
	;; [unrolled: 1-line block ×3, first 2 shown]
	v_fma_f16 v8, v8, -0.5, v18
	v_add_f16_e32 v18, v38, v39
	v_add_f16_e32 v18, v18, v9
	v_sub_f16_e32 v9, v39, v9
	v_fma_f16 v20, v9, s4, v8
	v_fma_f16 v8, v9, s5, v8
	v_mul_f16_e32 v9, 0xbaee, v20
	v_mul_f16_e32 v20, 0.5, v20
	v_fma_f16 v9, v26, 0.5, v9
	v_fma_f16 v20, v26, s4, v20
	v_mul_f16_e32 v26, 0xbaee, v8
	v_mul_f16_e32 v8, -0.5, v8
	v_fma_f16 v26, v19, -0.5, v26
	v_fma_f16 v8, v19, s4, v8
	v_add_f16_e32 v19, v21, v18
	v_sub_f16_e32 v18, v21, v18
	v_add_f16_e32 v21, v23, v9
	v_sub_f16_e32 v9, v23, v9
	;; [unrolled: 2-line block ×6, first 2 shown]
	v_mul_u32_u24_e32 v16, 0x90, v30
	v_lshlrev_b32_sdwa v27, v36, v31 dst_sel:DWORD dst_unused:UNUSED_PAD src0_sel:DWORD src1_sel:BYTE_0
	v_add3_u32 v16, 0, v16, v27
	v_pack_b32_f16 v9, v9, v20
	v_pack_b32_f16 v8, v17, v8
	ds_write2_b32 v28, v42, v45 offset1:6
	ds_write2_b32 v16, v9, v8 offset0:24 offset1:30
	v_mov_b32_e32 v8, 57
	v_mul_lo_u16_sdwa v9, v5, v8 dst_sel:DWORD dst_unused:UNUSED_PAD src0_sel:BYTE_0 src1_sel:DWORD
	v_lshrrev_b16_e32 v28, 11, v9
	v_mul_lo_u16_e32 v9, 36, v28
	v_sub_u16_e32 v30, v5, v9
	v_pack_b32_f16 v19, v19, v26
	v_pack_b32_f16 v21, v21, v25
	v_mul_u32_u24_sdwa v9, v30, v29 dst_sel:DWORD dst_unused:UNUSED_PAD src0_sel:BYTE_0 src1_sel:DWORD
	ds_write2_b32 v16, v19, v21 offset1:6
	v_pack_b32_f16 v19, v23, v22
	v_pack_b32_f16 v18, v18, v24
	v_lshlrev_b32_e32 v9, 2, v9
	ds_write2_b32 v16, v19, v18 offset0:12 offset1:18
	s_waitcnt lgkmcnt(0)
	s_barrier
	global_load_dwordx4 v[16:19], v9, s[12:13] offset:120
	v_mul_lo_u16_sdwa v8, v7, v8 dst_sel:DWORD dst_unused:UNUSED_PAD src0_sel:BYTE_0 src1_sel:DWORD
	v_lshrrev_b16_e32 v31, 11, v8
	v_mul_lo_u16_e32 v8, 36, v31
	v_sub_u16_e32 v32, v7, v8
	v_mul_u32_u24_sdwa v8, v32, v29 dst_sel:DWORD dst_unused:UNUSED_PAD src0_sel:BYTE_0 src1_sel:DWORD
	v_lshlrev_b32_e32 v24, 2, v8
	global_load_dwordx4 v[20:23], v24, s[12:13] offset:120
	global_load_dword v29, v9, s[12:13] offset:136
	global_load_dword v33, v24, s[12:13] offset:136
	ds_read2_b32 v[8:9], v0 offset1:216
	ds_read2_b32 v[24:25], v13 offset0:68 offset1:176
	v_mul_u32_u24_e32 v28, 0x360, v28
	v_lshlrev_b32_sdwa v30, v36, v30 dst_sel:DWORD dst_unused:UNUSED_PAD src0_sel:DWORD src1_sel:BYTE_0
	v_add3_u32 v28, 0, v28, v30
	s_waitcnt lgkmcnt(1)
	v_lshrrev_b32_e32 v26, 16, v9
	s_add_u32 s7, s12, 0x1428
	s_addc_u32 s8, s13, 0
	s_waitcnt vmcnt(3)
	v_mul_f16_sdwa v27, v16, v9 dst_sel:DWORD dst_unused:UNUSED_PAD src0_sel:WORD_1 src1_sel:DWORD
	v_fma_f16 v34, v16, v26, -v27
	v_mul_f16_sdwa v26, v16, v26 dst_sel:DWORD dst_unused:UNUSED_PAD src0_sel:WORD_1 src1_sel:DWORD
	v_fma_f16 v9, v16, v9, v26
	s_waitcnt lgkmcnt(0)
	v_lshrrev_b32_e32 v16, 16, v25
	ds_read2_b32 v[26:27], v10 offset0:28 offset1:136
	v_mul_f16_sdwa v35, v17, v25 dst_sel:DWORD dst_unused:UNUSED_PAD src0_sel:WORD_1 src1_sel:DWORD
	v_fma_f16 v35, v17, v16, -v35
	v_mul_f16_sdwa v16, v17, v16 dst_sel:DWORD dst_unused:UNUSED_PAD src0_sel:WORD_1 src1_sel:DWORD
	v_fma_f16 v25, v17, v25, v16
	ds_read2_b32 v[16:17], v15 offset0:116 offset1:224
	s_waitcnt lgkmcnt(1)
	v_lshrrev_b32_e32 v37, 16, v27
	v_mul_f16_sdwa v38, v18, v27 dst_sel:DWORD dst_unused:UNUSED_PAD src0_sel:WORD_1 src1_sel:DWORD
	v_fma_f16 v38, v18, v37, -v38
	v_mul_f16_sdwa v37, v18, v37 dst_sel:DWORD dst_unused:UNUSED_PAD src0_sel:WORD_1 src1_sel:DWORD
	v_fma_f16 v27, v18, v27, v37
	s_waitcnt lgkmcnt(0)
	v_lshrrev_b32_e32 v18, 16, v17
	v_mul_f16_sdwa v37, v19, v17 dst_sel:DWORD dst_unused:UNUSED_PAD src0_sel:WORD_1 src1_sel:DWORD
	v_fma_f16 v37, v19, v18, -v37
	v_mul_f16_sdwa v18, v19, v18 dst_sel:DWORD dst_unused:UNUSED_PAD src0_sel:WORD_1 src1_sel:DWORD
	v_fma_f16 v19, v19, v17, v18
	v_lshrrev_b32_e32 v17, 16, v24
	s_waitcnt vmcnt(2)
	v_mul_f16_sdwa v18, v17, v20 dst_sel:DWORD dst_unused:UNUSED_PAD src0_sel:DWORD src1_sel:WORD_1
	v_fma_f16 v39, v24, v20, v18
	v_mul_f16_sdwa v18, v24, v20 dst_sel:DWORD dst_unused:UNUSED_PAD src0_sel:DWORD src1_sel:WORD_1
	v_fma_f16 v20, v17, v20, -v18
	v_lshrrev_b32_e32 v17, 16, v26
	v_mul_f16_sdwa v18, v17, v21 dst_sel:DWORD dst_unused:UNUSED_PAD src0_sel:DWORD src1_sel:WORD_1
	v_fma_f16 v24, v26, v21, v18
	v_mul_f16_sdwa v18, v26, v21 dst_sel:DWORD dst_unused:UNUSED_PAD src0_sel:DWORD src1_sel:WORD_1
	v_fma_f16 v21, v17, v21, -v18
	ds_read2_b32 v[17:18], v14 offset0:76 offset1:184
	v_lshrrev_b32_e32 v26, 16, v16
	v_mul_f16_sdwa v40, v26, v22 dst_sel:DWORD dst_unused:UNUSED_PAD src0_sel:DWORD src1_sel:WORD_1
	v_fma_f16 v40, v16, v22, v40
	v_mul_f16_sdwa v16, v16, v22 dst_sel:DWORD dst_unused:UNUSED_PAD src0_sel:DWORD src1_sel:WORD_1
	v_fma_f16 v16, v26, v22, -v16
	s_waitcnt lgkmcnt(0)
	v_lshrrev_b32_e32 v22, 16, v17
	v_mul_f16_sdwa v26, v17, v23 dst_sel:DWORD dst_unused:UNUSED_PAD src0_sel:DWORD src1_sel:WORD_1
	v_fma_f16 v26, v22, v23, -v26
	v_mul_f16_sdwa v22, v22, v23 dst_sel:DWORD dst_unused:UNUSED_PAD src0_sel:DWORD src1_sel:WORD_1
	v_fma_f16 v17, v17, v23, v22
	v_lshrrev_b32_e32 v22, 16, v18
	s_waitcnt vmcnt(1)
	v_mul_f16_sdwa v23, v29, v22 dst_sel:DWORD dst_unused:UNUSED_PAD src0_sel:WORD_1 src1_sel:DWORD
	v_fma_f16 v23, v29, v18, v23
	v_mul_f16_sdwa v18, v29, v18 dst_sel:DWORD dst_unused:UNUSED_PAD src0_sel:WORD_1 src1_sel:DWORD
	v_fma_f16 v18, v29, v22, -v18
	v_add_f16_e32 v22, v25, v19
	v_fma_f16 v22, v22, -0.5, v8
	v_lshrrev_b32_e32 v29, 16, v8
	v_add_f16_e32 v8, v8, v25
	v_add_f16_e32 v41, v29, v35
	v_sub_f16_e32 v42, v35, v37
	v_add_f16_e32 v35, v35, v37
	v_add_f16_e32 v8, v8, v19
	v_sub_f16_e32 v19, v25, v19
	v_add_f16_e32 v25, v34, v38
	v_fma_f16 v29, v35, -0.5, v29
	v_add_f16_e32 v25, v25, v18
	v_sub_f16_e32 v35, v38, v18
	v_add_f16_e32 v18, v38, v18
	v_fma_f16 v18, v18, -0.5, v34
	v_add_f16_e32 v34, v27, v23
	v_fma_f16 v34, v34, -0.5, v9
	v_add_f16_e32 v9, v9, v27
	v_add_f16_e32 v9, v9, v23
	v_sub_f16_e32 v23, v27, v23
	v_add_f16_e32 v41, v41, v37
	v_fma_f16 v37, v23, s4, v18
	v_fma_f16 v27, v35, s5, v34
	v_mul_f16_e32 v38, 0xbaee, v37
	v_mul_f16_e32 v37, 0.5, v37
	v_fma_f16 v38, v27, 0.5, v38
	v_fma_f16 v27, v27, s4, v37
	v_add_f16_e32 v30, v8, v9
	v_add_f16_e32 v37, v41, v25
	v_pack_b32_f16 v30, v30, v37
	v_fma_f16 v37, v42, s5, v22
	v_fma_f16 v43, v19, s4, v29
	;; [unrolled: 1-line block ×3, first 2 shown]
	v_add_f16_e32 v44, v37, v38
	v_add_f16_e32 v45, v43, v27
	v_fma_f16 v19, v19, s5, v29
	v_fma_f16 v29, v35, s4, v34
	v_mul_f16_e32 v23, 0xbaee, v18
	v_mul_f16_e32 v18, -0.5, v18
	v_pack_b32_f16 v44, v44, v45
	ds_read_b32 v45, v11
	ds_read_b32 v46, v0 offset:4752
	v_fma_f16 v22, v42, s4, v22
	v_fma_f16 v23, v29, -0.5, v23
	v_fma_f16 v18, v29, s4, v18
	v_sub_f16_e32 v8, v8, v9
	v_sub_f16_e32 v9, v41, v25
	v_add_f16_e32 v25, v22, v23
	v_add_f16_e32 v29, v19, v18
	v_pack_b32_f16 v25, v25, v29
	v_pack_b32_f16 v8, v8, v9
	s_waitcnt vmcnt(0) lgkmcnt(0)
	s_barrier
	ds_write2_b32 v28, v25, v8 offset0:72 offset1:108
	v_sub_f16_e32 v8, v37, v38
	v_sub_f16_e32 v9, v22, v23
	;; [unrolled: 1-line block ×4, first 2 shown]
	v_pack_b32_f16 v8, v8, v22
	v_pack_b32_f16 v9, v9, v18
	ds_write2_b32 v28, v8, v9 offset0:144 offset1:180
	v_lshrrev_b32_e32 v8, 16, v46
	v_mul_f16_sdwa v18, v46, v33 dst_sel:DWORD dst_unused:UNUSED_PAD src0_sel:DWORD src1_sel:WORD_1
	v_mul_f16_sdwa v9, v8, v33 dst_sel:DWORD dst_unused:UNUSED_PAD src0_sel:DWORD src1_sel:WORD_1
	v_fma_f16 v8, v8, v33, -v18
	v_add_f16_e32 v18, v24, v17
	v_fma_f16 v18, v18, -0.5, v45
	v_sub_f16_e32 v19, v21, v26
	v_fma_f16 v22, v19, s5, v18
	v_fma_f16 v18, v19, s4, v18
	v_lshrrev_b32_e32 v19, 16, v45
	v_add_f16_e32 v23, v19, v21
	v_add_f16_e32 v21, v21, v26
	v_fma_f16 v19, v21, -0.5, v19
	v_add_f16_e32 v21, v45, v24
	v_fma_f16 v9, v46, v33, v9
	v_add_f16_e32 v21, v21, v17
	v_sub_f16_e32 v17, v24, v17
	v_fma_f16 v24, v17, s4, v19
	v_fma_f16 v17, v17, s5, v19
	v_add_f16_e32 v19, v40, v9
	v_fma_f16 v19, v19, -0.5, v39
	v_sub_f16_e32 v25, v16, v8
	v_add_f16_e32 v23, v23, v26
	v_fma_f16 v26, v25, s5, v19
	v_fma_f16 v19, v25, s4, v19
	v_add_f16_e32 v25, v20, v16
	v_add_f16_e32 v25, v25, v8
	;; [unrolled: 1-line block ×4, first 2 shown]
	v_fma_f16 v8, v8, -0.5, v20
	v_add_f16_e32 v16, v16, v9
	v_sub_f16_e32 v9, v40, v9
	v_fma_f16 v20, v9, s4, v8
	v_fma_f16 v8, v9, s5, v8
	v_mul_f16_e32 v9, 0xbaee, v20
	v_mul_f16_e32 v20, 0.5, v20
	v_fma_f16 v9, v26, 0.5, v9
	v_fma_f16 v20, v26, s4, v20
	v_mul_f16_e32 v26, 0xbaee, v8
	v_mul_f16_e32 v8, -0.5, v8
	v_fma_f16 v26, v19, -0.5, v26
	v_fma_f16 v8, v19, s4, v8
	v_add_f16_e32 v19, v21, v16
	v_sub_f16_e32 v16, v21, v16
	v_add_f16_e32 v21, v22, v9
	v_sub_f16_e32 v9, v22, v9
	;; [unrolled: 2-line block ×6, first 2 shown]
	v_mul_u32_u24_e32 v17, 0x360, v31
	v_lshlrev_b32_sdwa v27, v36, v32 dst_sel:DWORD dst_unused:UNUSED_PAD src0_sel:DWORD src1_sel:BYTE_0
	v_add3_u32 v17, 0, v17, v27
	v_pack_b32_f16 v9, v9, v20
	v_pack_b32_f16 v8, v18, v8
	ds_write2_b32 v28, v30, v44 offset1:36
	v_pack_b32_f16 v19, v19, v26
	v_pack_b32_f16 v21, v21, v25
	ds_write2_b32 v17, v9, v8 offset0:144 offset1:180
	v_mul_u32_u24_e32 v8, 5, v5
	ds_write2_b32 v17, v19, v21 offset1:36
	v_pack_b32_f16 v19, v22, v24
	v_pack_b32_f16 v16, v16, v23
	v_lshlrev_b32_e32 v26, 2, v8
	ds_write2_b32 v17, v19, v16 offset0:72 offset1:108
	s_waitcnt lgkmcnt(0)
	s_barrier
	global_load_dwordx4 v[16:19], v26, s[12:13] offset:840
	v_mul_i32_i24_e32 v8, 5, v7
	v_mov_b32_e32 v9, 0
	v_lshlrev_b64 v[20:21], 2, v[8:9]
	v_mov_b32_e32 v22, s13
	v_add_co_u32_e32 v24, vcc, s12, v20
	v_addc_co_u32_e32 v25, vcc, v22, v21, vcc
	global_load_dwordx4 v[20:23], v[24:25], off offset:840
	global_load_dword v8, v26, s[12:13] offset:856
	global_load_dword v32, v[24:25], off offset:856
	ds_read2_b32 v[26:27], v0 offset1:216
	ds_read2_b32 v[24:25], v13 offset0:68 offset1:176
	ds_read2_b32 v[28:29], v10 offset0:28 offset1:136
	;; [unrolled: 1-line block ×3, first 2 shown]
	v_add_u32_e32 v40, 0x680, v0
	v_cmp_ne_u32_e32 vcc, 0, v5
	s_waitcnt lgkmcnt(3)
	v_lshrrev_b32_e32 v10, 16, v27
	s_waitcnt vmcnt(3)
	v_mul_f16_sdwa v13, v16, v10 dst_sel:DWORD dst_unused:UNUSED_PAD src0_sel:WORD_1 src1_sel:DWORD
	v_fma_f16 v15, v16, v27, v13
	v_mul_f16_sdwa v13, v16, v27 dst_sel:DWORD dst_unused:UNUSED_PAD src0_sel:WORD_1 src1_sel:DWORD
	v_fma_f16 v10, v16, v10, -v13
	s_waitcnt lgkmcnt(2)
	v_lshrrev_b32_e32 v13, 16, v25
	v_mul_f16_sdwa v16, v17, v13 dst_sel:DWORD dst_unused:UNUSED_PAD src0_sel:WORD_1 src1_sel:DWORD
	v_fma_f16 v16, v17, v25, v16
	v_mul_f16_sdwa v25, v17, v25 dst_sel:DWORD dst_unused:UNUSED_PAD src0_sel:WORD_1 src1_sel:DWORD
	v_fma_f16 v17, v17, v13, -v25
	s_waitcnt lgkmcnt(1)
	v_lshrrev_b32_e32 v13, 16, v29
	v_mul_f16_sdwa v25, v18, v29 dst_sel:DWORD dst_unused:UNUSED_PAD src0_sel:WORD_1 src1_sel:DWORD
	v_fma_f16 v25, v18, v13, -v25
	v_mul_f16_sdwa v13, v18, v13 dst_sel:DWORD dst_unused:UNUSED_PAD src0_sel:WORD_1 src1_sel:DWORD
	v_fma_f16 v18, v18, v29, v13
	s_waitcnt lgkmcnt(0)
	v_lshrrev_b32_e32 v13, 16, v31
	v_mul_f16_sdwa v27, v19, v31 dst_sel:DWORD dst_unused:UNUSED_PAD src0_sel:WORD_1 src1_sel:DWORD
	v_fma_f16 v27, v19, v13, -v27
	v_mul_f16_sdwa v13, v19, v13 dst_sel:DWORD dst_unused:UNUSED_PAD src0_sel:WORD_1 src1_sel:DWORD
	v_fma_f16 v19, v19, v31, v13
	v_lshrrev_b32_e32 v13, 16, v24
	s_waitcnt vmcnt(2)
	v_mul_f16_sdwa v29, v13, v20 dst_sel:DWORD dst_unused:UNUSED_PAD src0_sel:DWORD src1_sel:WORD_1
	v_fma_f16 v29, v24, v20, v29
	v_mul_f16_sdwa v24, v24, v20 dst_sel:DWORD dst_unused:UNUSED_PAD src0_sel:DWORD src1_sel:WORD_1
	v_fma_f16 v20, v13, v20, -v24
	v_lshrrev_b32_e32 v13, 16, v28
	v_mul_f16_sdwa v24, v13, v21 dst_sel:DWORD dst_unused:UNUSED_PAD src0_sel:DWORD src1_sel:WORD_1
	v_fma_f16 v24, v28, v21, v24
	v_mul_f16_sdwa v28, v28, v21 dst_sel:DWORD dst_unused:UNUSED_PAD src0_sel:DWORD src1_sel:WORD_1
	v_fma_f16 v21, v13, v21, -v28
	ds_read2_b32 v[13:14], v14 offset0:76 offset1:184
	v_lshrrev_b32_e32 v28, 16, v30
	v_mul_f16_sdwa v31, v28, v22 dst_sel:DWORD dst_unused:UNUSED_PAD src0_sel:DWORD src1_sel:WORD_1
	v_fma_f16 v31, v30, v22, v31
	v_mul_f16_sdwa v30, v30, v22 dst_sel:DWORD dst_unused:UNUSED_PAD src0_sel:DWORD src1_sel:WORD_1
	v_fma_f16 v22, v28, v22, -v30
	s_waitcnt lgkmcnt(0)
	v_lshrrev_b32_e32 v28, 16, v13
	v_mul_f16_sdwa v30, v13, v23 dst_sel:DWORD dst_unused:UNUSED_PAD src0_sel:DWORD src1_sel:WORD_1
	v_fma_f16 v30, v28, v23, -v30
	v_mul_f16_sdwa v28, v28, v23 dst_sel:DWORD dst_unused:UNUSED_PAD src0_sel:DWORD src1_sel:WORD_1
	v_fma_f16 v13, v13, v23, v28
	v_lshrrev_b32_e32 v23, 16, v14
	s_waitcnt vmcnt(1)
	v_mul_f16_sdwa v28, v8, v23 dst_sel:DWORD dst_unused:UNUSED_PAD src0_sel:WORD_1 src1_sel:DWORD
	v_fma_f16 v28, v8, v14, v28
	v_mul_f16_sdwa v14, v8, v14 dst_sel:DWORD dst_unused:UNUSED_PAD src0_sel:WORD_1 src1_sel:DWORD
	v_fma_f16 v8, v8, v23, -v14
	v_add_f16_e32 v14, v16, v19
	v_lshrrev_b32_e32 v23, 16, v26
	v_fma_f16 v14, v14, -0.5, v26
	v_add_f16_e32 v26, v26, v16
	v_add_f16_e32 v33, v23, v17
	v_sub_f16_e32 v34, v17, v27
	v_add_f16_e32 v17, v17, v27
	v_fma_f16 v17, v17, -0.5, v23
	v_add_f16_e32 v23, v26, v19
	v_sub_f16_e32 v16, v16, v19
	v_add_f16_e32 v19, v10, v25
	v_add_f16_e32 v19, v19, v8
	v_sub_f16_e32 v26, v25, v8
	v_add_f16_e32 v8, v25, v8
	v_fma_f16 v8, v8, -0.5, v10
	v_add_f16_e32 v10, v18, v28
	v_fma_f16 v10, v10, -0.5, v15
	v_add_f16_e32 v15, v15, v18
	v_sub_f16_e32 v18, v18, v28
	v_add_f16_e32 v33, v33, v27
	v_fma_f16 v27, v18, s5, v8
	v_add_f16_e32 v15, v15, v28
	v_fma_f16 v25, v26, s4, v10
	v_mul_f16_e32 v28, 0xbaee, v27
	v_mul_f16_e32 v27, -0.5, v27
	v_fma_f16 v28, v25, -0.5, v28
	v_fma_f16 v25, v25, s4, v27
	v_fma_f16 v27, v34, s4, v14
	;; [unrolled: 1-line block ×3, first 2 shown]
	v_add_f16_e32 v36, v27, v28
	v_add_f16_e32 v37, v35, v25
	v_pack_b32_f16 v36, v36, v37
	v_sub_f16_e32 v37, v23, v15
	v_sub_f16_e32 v38, v33, v19
	v_pack_b32_f16 v37, v37, v38
	ds_read_b32 v38, v11
	ds_read_b32 v39, v0 offset:4752
	v_fma_f16 v8, v18, s4, v8
	v_fma_f16 v10, v26, s5, v10
	v_mul_f16_e32 v18, 0xbaee, v8
	v_mul_f16_e32 v8, 0.5, v8
	v_fma_f16 v16, v16, s4, v17
	v_add_f16_e32 v15, v23, v15
	v_fma_f16 v8, v10, s4, v8
	v_add_f16_e32 v23, v24, v13
	v_add_f16_e32 v17, v33, v19
	;; [unrolled: 1-line block ×3, first 2 shown]
	v_sub_f16_e32 v8, v16, v8
	v_sub_f16_e32 v16, v35, v25
	s_waitcnt lgkmcnt(1)
	v_fma_f16 v23, v23, -0.5, v38
	v_sub_f16_e32 v25, v21, v30
	v_fma_f16 v14, v34, s5, v14
	v_fma_f16 v18, v10, 0.5, v18
	v_fma_f16 v26, v25, s5, v23
	v_fma_f16 v23, v25, s4, v23
	v_lshrrev_b32_e32 v25, 16, v38
	s_waitcnt vmcnt(0) lgkmcnt(0)
	s_barrier
	ds_write2_b32 v40, v36, v37 offset0:16 offset1:232
	v_lshrrev_b32_e32 v36, 16, v39
	v_add_f16_e32 v10, v14, v18
	v_sub_f16_e32 v14, v14, v18
	v_sub_f16_e32 v18, v27, v28
	v_add_f16_e32 v27, v25, v21
	v_add_f16_e32 v21, v21, v30
	v_mul_f16_sdwa v37, v36, v32 dst_sel:DWORD dst_unused:UNUSED_PAD src0_sel:DWORD src1_sel:WORD_1
	v_fma_f16 v21, v21, -0.5, v25
	v_add_f16_e32 v25, v38, v24
	v_fma_f16 v37, v39, v32, v37
	v_mul_f16_sdwa v39, v39, v32 dst_sel:DWORD dst_unused:UNUSED_PAD src0_sel:DWORD src1_sel:WORD_1
	v_add_f16_e32 v25, v25, v13
	v_sub_f16_e32 v13, v24, v13
	v_fma_f16 v32, v36, v32, -v39
	v_fma_f16 v24, v13, s4, v21
	v_fma_f16 v13, v13, s5, v21
	v_add_f16_e32 v21, v31, v37
	v_fma_f16 v21, v21, -0.5, v29
	v_sub_f16_e32 v28, v22, v32
	v_add_f16_e32 v27, v27, v30
	v_fma_f16 v30, v28, s5, v21
	v_fma_f16 v21, v28, s4, v21
	v_add_f16_e32 v28, v20, v22
	v_add_f16_e32 v22, v22, v32
	v_fma_f16 v20, v22, -0.5, v20
	v_add_f16_e32 v22, v29, v31
	v_sub_f16_e32 v29, v31, v37
	v_fma_f16 v31, v29, s4, v20
	v_fma_f16 v20, v29, s5, v20
	v_mul_f16_e32 v29, 0xbaee, v31
	v_mul_f16_e32 v31, 0.5, v31
	v_fma_f16 v29, v30, 0.5, v29
	v_fma_f16 v30, v30, s4, v31
	v_mul_f16_e32 v31, 0xbaee, v20
	v_add_f16_e32 v28, v28, v32
	v_add_f16_e32 v22, v22, v37
	v_fma_f16 v31, v21, -0.5, v31
	v_mul_f16_e32 v20, -0.5, v20
	v_pack_b32_f16 v15, v15, v17
	v_pack_b32_f16 v10, v10, v19
	v_fma_f16 v20, v21, s4, v20
	v_add_f16_e32 v21, v25, v22
	v_sub_f16_e32 v22, v25, v22
	v_add_f16_e32 v25, v26, v29
	v_sub_f16_e32 v26, v26, v29
	;; [unrolled: 2-line block ×4, first 2 shown]
	v_add_f16_e32 v28, v24, v30
	ds_write2_b32 v0, v15, v10 offset1:216
	v_pack_b32_f16 v8, v14, v8
	v_pack_b32_f16 v10, v18, v16
	v_add_u32_e32 v14, 0xd00, v0
	v_sub_f16_e32 v24, v24, v30
	v_add_f16_e32 v30, v13, v20
	ds_write2_b32 v14, v8, v10 offset0:32 offset1:248
	v_pack_b32_f16 v8, v21, v31
	v_pack_b32_f16 v10, v25, v28
	v_sub_f16_e32 v13, v13, v20
	ds_write2_b32 v11, v8, v10 offset1:216
	v_pack_b32_f16 v8, v29, v30
	v_pack_b32_f16 v10, v22, v27
	v_add_u32_e32 v14, 0x680, v11
	ds_write2_b32 v14, v8, v10 offset0:16 offset1:232
	v_pack_b32_f16 v8, v26, v24
	v_pack_b32_f16 v10, v23, v13
	v_add_u32_e32 v11, 0xd00, v11
	ds_write2_b32 v11, v8, v10 offset0:32 offset1:248
	s_waitcnt lgkmcnt(0)
	s_barrier
	ds_read_b32 v8, v0
	v_sub_u32_e32 v13, 0, v6
                                        ; implicit-def: $vgpr16
                                        ; implicit-def: $vgpr14
                                        ; implicit-def: $vgpr15
                                        ; implicit-def: $vgpr10_vgpr11
	s_and_saveexec_b64 s[4:5], vcc
	s_xor_b64 s[4:5], exec, s[4:5]
	s_cbranch_execz .LBB0_15
; %bb.14:
	v_mov_b32_e32 v6, v9
	v_lshlrev_b64 v[9:10], 2, v[5:6]
	v_mov_b32_e32 v11, s8
	v_add_co_u32_e32 v9, vcc, s7, v9
	v_addc_co_u32_e32 v10, vcc, v11, v10, vcc
	global_load_dword v9, v[9:10], off
	ds_read_b32 v10, v13 offset:5184
	s_waitcnt lgkmcnt(0)
	v_pk_add_f16 v11, v8, v10 neg_lo:[0,1] neg_hi:[0,1]
	v_pk_add_f16 v8, v10, v8
	v_bfi_b32 v10, s6, v11, v8
	v_bfi_b32 v8, s6, v8, v11
	v_pk_mul_f16 v10, v10, 0.5 op_sel_hi:[1,0]
	v_pk_mul_f16 v11, v8, 0.5 op_sel_hi:[1,0]
	s_waitcnt vmcnt(0)
	v_pk_mul_f16 v14, v9, v10 op_sel:[1,0]
	v_pk_mul_f16 v9, v9, v10 op_sel_hi:[0,1]
	v_pk_fma_f16 v8, v8, 0.5, v14 op_sel_hi:[1,0,1]
	v_sub_f16_e32 v10, v11, v14
	v_sub_f16_sdwa v11, v14, v11 dst_sel:DWORD dst_unused:UNUSED_PAD src0_sel:WORD_1 src1_sel:WORD_1
	v_pk_add_f16 v16, v8, v9 op_sel:[0,1] op_sel_hi:[1,0]
	v_pk_add_f16 v8, v8, v9 op_sel:[0,1] op_sel_hi:[1,0] neg_lo:[0,1] neg_hi:[0,1]
	v_sub_f16_sdwa v14, v10, v9 dst_sel:DWORD dst_unused:UNUSED_PAD src0_sel:DWORD src1_sel:WORD_1
	v_sub_f16_e32 v15, v11, v9
	v_mov_b32_e32 v11, v6
	v_bfi_b32 v16, s6, v16, v8
	v_mov_b32_e32 v10, v5
                                        ; implicit-def: $vgpr8
.LBB0_15:
	s_or_saveexec_b64 s[4:5], s[4:5]
	v_mul_i32_i24_e32 v6, 0xffffffec, v7
	s_xor_b64 exec, exec, s[4:5]
	s_cbranch_execz .LBB0_17
; %bb.16:
	v_mov_b32_e32 v15, 0
	ds_read_u16 v9, v15 offset:2594
	s_waitcnt lgkmcnt(1)
	v_alignbit_b32 v16, s0, v8, 16
	v_sub_f16_sdwa v14, v8, v8 dst_sel:DWORD dst_unused:UNUSED_PAD src0_sel:DWORD src1_sel:WORD_1
	v_mov_b32_e32 v10, 0
	v_pk_add_f16 v8, v16, v8
	v_mov_b32_e32 v11, 0
	s_waitcnt lgkmcnt(0)
	v_xor_b32_e32 v9, 0x8000, v9
	v_pack_b32_f16 v16, v8, 0
	ds_write_b16 v15, v9 offset:2594
.LBB0_17:
	s_or_b64 exec, exec, s[4:5]
	s_waitcnt lgkmcnt(0)
	v_mov_b32_e32 v8, 0
	v_lshlrev_b64 v[17:18], 2, v[7:8]
	v_mov_b32_e32 v7, s8
	v_add_co_u32_e32 v17, vcc, s7, v17
	v_addc_co_u32_e32 v18, vcc, v7, v18, vcc
	global_load_dword v7, v[17:18], off
	v_lshlrev_b64 v[9:10], 2, v[10:11]
	v_mov_b32_e32 v11, s8
	v_add_co_u32_e32 v9, vcc, s7, v9
	v_addc_co_u32_e32 v10, vcc, v11, v10, vcc
	global_load_dword v11, v[9:10], off offset:864
	global_load_dword v17, v[9:10], off offset:1296
	ds_write_b16 v13, v15 offset:5186
	ds_write_b32 v0, v16
	ds_write_b16 v13, v14 offset:5184
	v_add_u32_e32 v6, v12, v6
	ds_read_b32 v12, v6
	ds_read_b32 v14, v13 offset:4752
	global_load_dword v15, v[9:10], off offset:1728
	s_mov_b32 s4, 0xffff
	s_waitcnt lgkmcnt(0)
	v_pk_add_f16 v16, v12, v14 neg_lo:[0,1] neg_hi:[0,1]
	v_pk_add_f16 v12, v12, v14
	v_bfi_b32 v14, s4, v16, v12
	v_bfi_b32 v12, s4, v12, v16
	v_pk_mul_f16 v14, v14, 0.5 op_sel_hi:[1,0]
	v_pk_mul_f16 v12, v12, 0.5 op_sel_hi:[1,0]
	s_waitcnt vmcnt(3)
	v_pk_fma_f16 v16, v7, v14, v12 op_sel:[1,0,0]
	v_pk_mul_f16 v18, v7, v14 op_sel_hi:[0,1]
	v_pk_fma_f16 v19, v7, v14, v12 op_sel:[1,0,0] neg_lo:[1,0,0] neg_hi:[1,0,0]
	v_pk_fma_f16 v7, v7, v14, v12 op_sel:[1,0,0] neg_lo:[0,0,1] neg_hi:[0,0,1]
	v_pk_add_f16 v12, v16, v18 op_sel:[0,1] op_sel_hi:[1,0]
	v_pk_add_f16 v14, v16, v18 op_sel:[0,1] op_sel_hi:[1,0] neg_lo:[0,1] neg_hi:[0,1]
	v_pk_add_f16 v16, v19, v18 op_sel:[0,1] op_sel_hi:[1,0] neg_lo:[0,1] neg_hi:[0,1]
	;; [unrolled: 1-line block ×3, first 2 shown]
	v_bfi_b32 v12, s4, v12, v14
	v_bfi_b32 v7, s4, v16, v7
	ds_write_b32 v6, v12
	ds_write_b32 v13, v7 offset:4752
	ds_read_b32 v6, v0 offset:864
	ds_read_b32 v7, v13 offset:4320
	global_load_dword v9, v[9:10], off offset:2160
	s_waitcnt lgkmcnt(0)
	v_pk_add_f16 v10, v6, v7 neg_lo:[0,1] neg_hi:[0,1]
	v_pk_add_f16 v6, v6, v7
	v_bfi_b32 v7, s4, v10, v6
	v_bfi_b32 v6, s4, v6, v10
	v_pk_mul_f16 v7, v7, 0.5 op_sel_hi:[1,0]
	v_pk_mul_f16 v6, v6, 0.5 op_sel_hi:[1,0]
	s_waitcnt vmcnt(3)
	v_pk_fma_f16 v10, v11, v7, v6 op_sel:[1,0,0]
	v_pk_mul_f16 v12, v11, v7 op_sel_hi:[0,1]
	v_pk_fma_f16 v14, v11, v7, v6 op_sel:[1,0,0] neg_lo:[1,0,0] neg_hi:[1,0,0]
	v_pk_fma_f16 v6, v11, v7, v6 op_sel:[1,0,0] neg_lo:[0,0,1] neg_hi:[0,0,1]
	v_pk_add_f16 v7, v10, v12 op_sel:[0,1] op_sel_hi:[1,0]
	v_pk_add_f16 v10, v10, v12 op_sel:[0,1] op_sel_hi:[1,0] neg_lo:[0,1] neg_hi:[0,1]
	v_pk_add_f16 v11, v14, v12 op_sel:[0,1] op_sel_hi:[1,0] neg_lo:[0,1] neg_hi:[0,1]
	;; [unrolled: 1-line block ×3, first 2 shown]
	v_bfi_b32 v7, s4, v7, v10
	v_bfi_b32 v6, s4, v11, v6
	ds_write_b32 v0, v7 offset:864
	ds_write_b32 v13, v6 offset:4320
	ds_read_b32 v6, v0 offset:1296
	ds_read_b32 v7, v13 offset:3888
	s_waitcnt lgkmcnt(0)
	v_pk_add_f16 v10, v6, v7 neg_lo:[0,1] neg_hi:[0,1]
	v_pk_add_f16 v6, v6, v7
	v_bfi_b32 v7, s4, v10, v6
	v_bfi_b32 v6, s4, v6, v10
	v_pk_mul_f16 v7, v7, 0.5 op_sel_hi:[1,0]
	v_pk_mul_f16 v10, v6, 0.5 op_sel_hi:[1,0]
	s_waitcnt vmcnt(2)
	v_pk_mul_f16 v11, v17, v7 op_sel:[1,0]
	v_pk_mul_f16 v7, v17, v7 op_sel_hi:[0,1]
	v_pk_fma_f16 v6, v6, 0.5, v11 op_sel_hi:[1,0,1]
	v_sub_f16_e32 v12, v10, v11
	v_sub_f16_sdwa v10, v11, v10 dst_sel:DWORD dst_unused:UNUSED_PAD src0_sel:WORD_1 src1_sel:WORD_1
	v_pk_add_f16 v11, v6, v7 op_sel:[0,1] op_sel_hi:[1,0]
	v_pk_add_f16 v6, v6, v7 op_sel:[0,1] op_sel_hi:[1,0] neg_lo:[0,1] neg_hi:[0,1]
	v_sub_f16_sdwa v12, v12, v7 dst_sel:DWORD dst_unused:UNUSED_PAD src0_sel:DWORD src1_sel:WORD_1
	v_sub_f16_e32 v7, v10, v7
	v_bfi_b32 v6, s4, v11, v6
	ds_write_b16 v13, v7 offset:3890
	ds_write_b32 v0, v6 offset:1296
	ds_write_b16 v13, v12 offset:3888
	ds_read_b32 v6, v0 offset:1728
	ds_read_b32 v7, v13 offset:3456
	s_waitcnt lgkmcnt(0)
	v_pk_add_f16 v10, v6, v7 neg_lo:[0,1] neg_hi:[0,1]
	v_pk_add_f16 v6, v6, v7
	v_bfi_b32 v7, s4, v10, v6
	v_bfi_b32 v6, s4, v6, v10
	v_pk_mul_f16 v7, v7, 0.5 op_sel_hi:[1,0]
	v_pk_mul_f16 v6, v6, 0.5 op_sel_hi:[1,0]
	s_waitcnt vmcnt(1)
	v_pk_fma_f16 v10, v15, v7, v6 op_sel:[1,0,0]
	v_pk_mul_f16 v11, v15, v7 op_sel_hi:[0,1]
	v_pk_fma_f16 v12, v15, v7, v6 op_sel:[1,0,0] neg_lo:[1,0,0] neg_hi:[1,0,0]
	v_pk_fma_f16 v6, v15, v7, v6 op_sel:[1,0,0] neg_lo:[0,0,1] neg_hi:[0,0,1]
	v_pk_add_f16 v7, v10, v11 op_sel:[0,1] op_sel_hi:[1,0]
	v_pk_add_f16 v10, v10, v11 op_sel:[0,1] op_sel_hi:[1,0] neg_lo:[0,1] neg_hi:[0,1]
	v_pk_add_f16 v12, v12, v11 op_sel:[0,1] op_sel_hi:[1,0] neg_lo:[0,1] neg_hi:[0,1]
	;; [unrolled: 1-line block ×3, first 2 shown]
	v_bfi_b32 v7, s4, v7, v10
	v_bfi_b32 v6, s4, v12, v6
	ds_write_b32 v0, v7 offset:1728
	ds_write_b32 v13, v6 offset:3456
	ds_read_b32 v6, v0 offset:2160
	ds_read_b32 v7, v13 offset:3024
	s_waitcnt lgkmcnt(0)
	v_pk_add_f16 v10, v6, v7 neg_lo:[0,1] neg_hi:[0,1]
	v_pk_add_f16 v6, v6, v7
	v_bfi_b32 v7, s4, v10, v6
	v_bfi_b32 v6, s4, v6, v10
	v_pk_mul_f16 v7, v7, 0.5 op_sel_hi:[1,0]
	v_pk_mul_f16 v6, v6, 0.5 op_sel_hi:[1,0]
	s_waitcnt vmcnt(0)
	v_pk_fma_f16 v10, v9, v7, v6 op_sel:[1,0,0]
	v_pk_mul_f16 v11, v9, v7 op_sel_hi:[0,1]
	v_pk_fma_f16 v12, v9, v7, v6 op_sel:[1,0,0] neg_lo:[1,0,0] neg_hi:[1,0,0]
	v_pk_fma_f16 v6, v9, v7, v6 op_sel:[1,0,0] neg_lo:[0,0,1] neg_hi:[0,0,1]
	v_pk_add_f16 v7, v10, v11 op_sel:[0,1] op_sel_hi:[1,0]
	v_pk_add_f16 v9, v10, v11 op_sel:[0,1] op_sel_hi:[1,0] neg_lo:[0,1] neg_hi:[0,1]
	v_pk_add_f16 v10, v12, v11 op_sel:[0,1] op_sel_hi:[1,0] neg_lo:[0,1] neg_hi:[0,1]
	;; [unrolled: 1-line block ×3, first 2 shown]
	v_bfi_b32 v7, s4, v7, v9
	v_bfi_b32 v6, s4, v10, v6
	ds_write_b32 v0, v7 offset:2160
	ds_write_b32 v13, v6 offset:3024
	s_waitcnt lgkmcnt(0)
	s_barrier
	s_and_saveexec_b64 s[4:5], s[0:1]
	s_cbranch_execz .LBB0_20
; %bb.18:
	v_mul_lo_u32 v0, s3, v3
	v_mul_lo_u32 v6, s2, v4
	v_mad_u64_u32 v[3:4], s[0:1], s2, v3, 0
	v_lshlrev_b64 v[1:2], 2, v[1:2]
	v_lshl_add_u32 v11, v5, 2, 0
	v_add3_u32 v4, v4, v6, v0
	v_lshlrev_b64 v[3:4], 2, v[3:4]
	v_mov_b32_e32 v0, s11
	v_add_co_u32_e32 v3, vcc, s10, v3
	v_addc_co_u32_e32 v0, vcc, v0, v4, vcc
	v_mov_b32_e32 v6, v8
	ds_read2_b32 v[9:10], v11 offset1:108
	v_add_co_u32_e32 v1, vcc, v3, v1
	v_addc_co_u32_e32 v0, vcc, v0, v2, vcc
	v_lshlrev_b64 v[2:3], 2, v[5:6]
	v_add_u32_e32 v7, 0x6c, v5
	v_add_co_u32_e32 v2, vcc, v1, v2
	v_addc_co_u32_e32 v3, vcc, v0, v3, vcc
	s_waitcnt lgkmcnt(0)
	global_store_dword v[2:3], v9, off
	v_lshlrev_b64 v[2:3], 2, v[7:8]
	v_add_u32_e32 v7, 0xd8, v5
	v_add_co_u32_e32 v2, vcc, v1, v2
	v_addc_co_u32_e32 v3, vcc, v0, v3, vcc
	global_store_dword v[2:3], v10, off
	v_add_u32_e32 v2, 0x200, v11
	ds_read2_b32 v[2:3], v2 offset0:88 offset1:196
	v_lshlrev_b64 v[6:7], 2, v[7:8]
	s_movk_i32 s0, 0x6b
	v_add_co_u32_e32 v6, vcc, v1, v6
	v_addc_co_u32_e32 v7, vcc, v0, v7, vcc
	s_waitcnt lgkmcnt(0)
	global_store_dword v[6:7], v2, off
	v_add_u32_e32 v7, 0x144, v5
	v_lshlrev_b64 v[6:7], 2, v[7:8]
	v_add_u32_e32 v2, 0x600, v11
	v_add_co_u32_e32 v6, vcc, v1, v6
	v_addc_co_u32_e32 v7, vcc, v0, v7, vcc
	global_store_dword v[6:7], v3, off
	v_add_u32_e32 v7, 0x1b0, v5
	ds_read2_b32 v[2:3], v2 offset0:48 offset1:156
	v_lshlrev_b64 v[6:7], 2, v[7:8]
	v_add_co_u32_e32 v6, vcc, v1, v6
	v_addc_co_u32_e32 v7, vcc, v0, v7, vcc
	s_waitcnt lgkmcnt(0)
	global_store_dword v[6:7], v2, off
	v_add_u32_e32 v7, 0x21c, v5
	v_lshlrev_b64 v[6:7], 2, v[7:8]
	v_add_u32_e32 v2, 0x800, v11
	v_add_co_u32_e32 v6, vcc, v1, v6
	v_addc_co_u32_e32 v7, vcc, v0, v7, vcc
	global_store_dword v[6:7], v3, off
	v_add_u32_e32 v7, 0x288, v5
	ds_read2_b32 v[2:3], v2 offset0:136 offset1:244
	v_lshlrev_b64 v[6:7], 2, v[7:8]
	v_add_co_u32_e32 v6, vcc, v1, v6
	v_addc_co_u32_e32 v7, vcc, v0, v7, vcc
	s_waitcnt lgkmcnt(0)
	global_store_dword v[6:7], v2, off
	v_add_u32_e32 v7, 0x2f4, v5
	v_lshlrev_b64 v[6:7], 2, v[7:8]
	v_add_u32_e32 v2, 0xc00, v11
	v_add_co_u32_e32 v6, vcc, v1, v6
	v_addc_co_u32_e32 v7, vcc, v0, v7, vcc
	global_store_dword v[6:7], v3, off
	v_add_u32_e32 v7, 0x360, v5
	ds_read2_b32 v[2:3], v2 offset0:96 offset1:204
	v_lshlrev_b64 v[6:7], 2, v[7:8]
	v_add_co_u32_e32 v6, vcc, v1, v6
	v_addc_co_u32_e32 v7, vcc, v0, v7, vcc
	s_waitcnt lgkmcnt(0)
	global_store_dword v[6:7], v2, off
	v_add_u32_e32 v7, 0x3cc, v5
	v_lshlrev_b64 v[6:7], 2, v[7:8]
	v_add_u32_e32 v2, 0x1000, v11
	v_add_co_u32_e32 v6, vcc, v1, v6
	v_addc_co_u32_e32 v7, vcc, v0, v7, vcc
	global_store_dword v[6:7], v3, off
	v_add_u32_e32 v7, 0x438, v5
	ds_read2_b32 v[2:3], v2 offset0:56 offset1:164
	v_lshlrev_b64 v[6:7], 2, v[7:8]
	v_add_co_u32_e32 v6, vcc, v1, v6
	v_addc_co_u32_e32 v7, vcc, v0, v7, vcc
	s_waitcnt lgkmcnt(0)
	global_store_dword v[6:7], v2, off
	v_add_u32_e32 v7, 0x4a4, v5
	v_lshlrev_b64 v[6:7], 2, v[7:8]
	v_add_co_u32_e32 v6, vcc, v1, v6
	v_addc_co_u32_e32 v7, vcc, v0, v7, vcc
	v_cmp_eq_u32_e32 vcc, s0, v5
	global_store_dword v[6:7], v3, off
	s_and_b64 exec, exec, vcc
	s_cbranch_execz .LBB0_20
; %bb.19:
	v_mov_b32_e32 v2, 0
	ds_read_b32 v3, v2 offset:5184
	v_add_co_u32_e32 v1, vcc, 0x1000, v1
	v_addc_co_u32_e32 v2, vcc, 0, v0, vcc
	s_waitcnt lgkmcnt(0)
	global_store_dword v[1:2], v3, off offset:1088
.LBB0_20:
	s_endpgm
	.section	.rodata,"a",@progbits
	.p2align	6, 0x0
	.amdhsa_kernel fft_rtc_back_len1296_factors_6_6_6_6_wgs_108_tpt_108_halfLds_half_op_CI_CI_unitstride_sbrr_R2C_dirReg
		.amdhsa_group_segment_fixed_size 0
		.amdhsa_private_segment_fixed_size 0
		.amdhsa_kernarg_size 104
		.amdhsa_user_sgpr_count 6
		.amdhsa_user_sgpr_private_segment_buffer 1
		.amdhsa_user_sgpr_dispatch_ptr 0
		.amdhsa_user_sgpr_queue_ptr 0
		.amdhsa_user_sgpr_kernarg_segment_ptr 1
		.amdhsa_user_sgpr_dispatch_id 0
		.amdhsa_user_sgpr_flat_scratch_init 0
		.amdhsa_user_sgpr_private_segment_size 0
		.amdhsa_uses_dynamic_stack 0
		.amdhsa_system_sgpr_private_segment_wavefront_offset 0
		.amdhsa_system_sgpr_workgroup_id_x 1
		.amdhsa_system_sgpr_workgroup_id_y 0
		.amdhsa_system_sgpr_workgroup_id_z 0
		.amdhsa_system_sgpr_workgroup_info 0
		.amdhsa_system_vgpr_workitem_id 0
		.amdhsa_next_free_vgpr 48
		.amdhsa_next_free_sgpr 28
		.amdhsa_reserve_vcc 1
		.amdhsa_reserve_flat_scratch 0
		.amdhsa_float_round_mode_32 0
		.amdhsa_float_round_mode_16_64 0
		.amdhsa_float_denorm_mode_32 3
		.amdhsa_float_denorm_mode_16_64 3
		.amdhsa_dx10_clamp 1
		.amdhsa_ieee_mode 1
		.amdhsa_fp16_overflow 0
		.amdhsa_exception_fp_ieee_invalid_op 0
		.amdhsa_exception_fp_denorm_src 0
		.amdhsa_exception_fp_ieee_div_zero 0
		.amdhsa_exception_fp_ieee_overflow 0
		.amdhsa_exception_fp_ieee_underflow 0
		.amdhsa_exception_fp_ieee_inexact 0
		.amdhsa_exception_int_div_zero 0
	.end_amdhsa_kernel
	.text
.Lfunc_end0:
	.size	fft_rtc_back_len1296_factors_6_6_6_6_wgs_108_tpt_108_halfLds_half_op_CI_CI_unitstride_sbrr_R2C_dirReg, .Lfunc_end0-fft_rtc_back_len1296_factors_6_6_6_6_wgs_108_tpt_108_halfLds_half_op_CI_CI_unitstride_sbrr_R2C_dirReg
                                        ; -- End function
	.section	.AMDGPU.csdata,"",@progbits
; Kernel info:
; codeLenInByte = 8124
; NumSgprs: 32
; NumVgprs: 48
; ScratchSize: 0
; MemoryBound: 0
; FloatMode: 240
; IeeeMode: 1
; LDSByteSize: 0 bytes/workgroup (compile time only)
; SGPRBlocks: 3
; VGPRBlocks: 11
; NumSGPRsForWavesPerEU: 32
; NumVGPRsForWavesPerEU: 48
; Occupancy: 5
; WaveLimiterHint : 1
; COMPUTE_PGM_RSRC2:SCRATCH_EN: 0
; COMPUTE_PGM_RSRC2:USER_SGPR: 6
; COMPUTE_PGM_RSRC2:TRAP_HANDLER: 0
; COMPUTE_PGM_RSRC2:TGID_X_EN: 1
; COMPUTE_PGM_RSRC2:TGID_Y_EN: 0
; COMPUTE_PGM_RSRC2:TGID_Z_EN: 0
; COMPUTE_PGM_RSRC2:TIDIG_COMP_CNT: 0
	.type	__hip_cuid_5d796e1859c7864c,@object ; @__hip_cuid_5d796e1859c7864c
	.section	.bss,"aw",@nobits
	.globl	__hip_cuid_5d796e1859c7864c
__hip_cuid_5d796e1859c7864c:
	.byte	0                               ; 0x0
	.size	__hip_cuid_5d796e1859c7864c, 1

	.ident	"AMD clang version 19.0.0git (https://github.com/RadeonOpenCompute/llvm-project roc-6.4.0 25133 c7fe45cf4b819c5991fe208aaa96edf142730f1d)"
	.section	".note.GNU-stack","",@progbits
	.addrsig
	.addrsig_sym __hip_cuid_5d796e1859c7864c
	.amdgpu_metadata
---
amdhsa.kernels:
  - .args:
      - .actual_access:  read_only
        .address_space:  global
        .offset:         0
        .size:           8
        .value_kind:     global_buffer
      - .offset:         8
        .size:           8
        .value_kind:     by_value
      - .actual_access:  read_only
        .address_space:  global
        .offset:         16
        .size:           8
        .value_kind:     global_buffer
      - .actual_access:  read_only
        .address_space:  global
        .offset:         24
        .size:           8
        .value_kind:     global_buffer
      - .actual_access:  read_only
        .address_space:  global
        .offset:         32
        .size:           8
        .value_kind:     global_buffer
      - .offset:         40
        .size:           8
        .value_kind:     by_value
      - .actual_access:  read_only
        .address_space:  global
        .offset:         48
        .size:           8
        .value_kind:     global_buffer
      - .actual_access:  read_only
        .address_space:  global
        .offset:         56
        .size:           8
        .value_kind:     global_buffer
      - .offset:         64
        .size:           4
        .value_kind:     by_value
      - .actual_access:  read_only
        .address_space:  global
        .offset:         72
        .size:           8
        .value_kind:     global_buffer
      - .actual_access:  read_only
        .address_space:  global
        .offset:         80
        .size:           8
        .value_kind:     global_buffer
      - .actual_access:  read_only
        .address_space:  global
        .offset:         88
        .size:           8
        .value_kind:     global_buffer
      - .actual_access:  write_only
        .address_space:  global
        .offset:         96
        .size:           8
        .value_kind:     global_buffer
    .group_segment_fixed_size: 0
    .kernarg_segment_align: 8
    .kernarg_segment_size: 104
    .language:       OpenCL C
    .language_version:
      - 2
      - 0
    .max_flat_workgroup_size: 108
    .name:           fft_rtc_back_len1296_factors_6_6_6_6_wgs_108_tpt_108_halfLds_half_op_CI_CI_unitstride_sbrr_R2C_dirReg
    .private_segment_fixed_size: 0
    .sgpr_count:     32
    .sgpr_spill_count: 0
    .symbol:         fft_rtc_back_len1296_factors_6_6_6_6_wgs_108_tpt_108_halfLds_half_op_CI_CI_unitstride_sbrr_R2C_dirReg.kd
    .uniform_work_group_size: 1
    .uses_dynamic_stack: false
    .vgpr_count:     48
    .vgpr_spill_count: 0
    .wavefront_size: 64
amdhsa.target:   amdgcn-amd-amdhsa--gfx906
amdhsa.version:
  - 1
  - 2
...

	.end_amdgpu_metadata
